;; amdgpu-corpus repo=ROCm/rocFFT kind=compiled arch=gfx1201 opt=O3
	.text
	.amdgcn_target "amdgcn-amd-amdhsa--gfx1201"
	.amdhsa_code_object_version 6
	.protected	fft_rtc_fwd_len90_factors_3_3_10_wgs_63_tpt_9_halfLds_dp_op_CI_CI_sbrr_dirReg ; -- Begin function fft_rtc_fwd_len90_factors_3_3_10_wgs_63_tpt_9_halfLds_dp_op_CI_CI_sbrr_dirReg
	.globl	fft_rtc_fwd_len90_factors_3_3_10_wgs_63_tpt_9_halfLds_dp_op_CI_CI_sbrr_dirReg
	.p2align	8
	.type	fft_rtc_fwd_len90_factors_3_3_10_wgs_63_tpt_9_halfLds_dp_op_CI_CI_sbrr_dirReg,@function
fft_rtc_fwd_len90_factors_3_3_10_wgs_63_tpt_9_halfLds_dp_op_CI_CI_sbrr_dirReg: ; @fft_rtc_fwd_len90_factors_3_3_10_wgs_63_tpt_9_halfLds_dp_op_CI_CI_sbrr_dirReg
; %bb.0:
	s_clause 0x1
	s_load_b128 s[12:15], s[0:1], 0x18
	s_load_b128 s[8:11], s[0:1], 0x0
	v_mul_u32_u24_e32 v1, 0x1c72, v0
	v_mov_b32_e32 v3, 0
	s_load_b128 s[4:7], s[0:1], 0x58
	s_wait_kmcnt 0x0
	s_load_b64 s[18:19], s[12:13], 0x0
	s_load_b64 s[16:17], s[14:15], 0x0
	v_lshrrev_b32_e32 v1, 16, v1
	v_cmp_lt_u64_e64 s2, s[10:11], 2
	s_delay_alu instid0(VALU_DEP_2) | instskip(SKIP_2) | instid1(VALU_DEP_4)
	v_mad_co_u64_u32 v[50:51], null, ttmp9, 7, v[1:2]
	v_mov_b32_e32 v1, 0
	v_dual_mov_b32 v2, 0 :: v_dual_mov_b32 v51, v3
	s_and_b32 vcc_lo, exec_lo, s2
	s_delay_alu instid0(VALU_DEP_1) | instskip(NEXT) | instid1(VALU_DEP_2)
	v_dual_mov_b32 v63, v2 :: v_dual_mov_b32 v62, v1
	v_dual_mov_b32 v65, v51 :: v_dual_mov_b32 v64, v50
	s_cbranch_vccnz .LBB0_8
; %bb.1:
	s_load_b64 s[2:3], s[0:1], 0x10
	v_mov_b32_e32 v1, 0
	v_dual_mov_b32 v2, 0 :: v_dual_mov_b32 v5, v50
	v_mov_b32_e32 v6, v51
	s_add_nc_u64 s[20:21], s[14:15], 8
	s_add_nc_u64 s[22:23], s[12:13], 8
	s_delay_alu instid0(VALU_DEP_2)
	v_dual_mov_b32 v63, v2 :: v_dual_mov_b32 v62, v1
	s_mov_b64 s[24:25], 1
	s_wait_kmcnt 0x0
	s_add_nc_u64 s[26:27], s[2:3], 8
	s_mov_b32 s3, 0
.LBB0_2:                                ; =>This Inner Loop Header: Depth=1
	s_load_b64 s[28:29], s[26:27], 0x0
                                        ; implicit-def: $vgpr64_vgpr65
	s_mov_b32 s2, exec_lo
	s_wait_kmcnt 0x0
	v_or_b32_e32 v4, s29, v6
	s_delay_alu instid0(VALU_DEP_1)
	v_cmpx_ne_u64_e32 0, v[3:4]
	s_wait_alu 0xfffe
	s_xor_b32 s30, exec_lo, s2
	s_cbranch_execz .LBB0_4
; %bb.3:                                ;   in Loop: Header=BB0_2 Depth=1
	s_cvt_f32_u32 s2, s28
	s_cvt_f32_u32 s31, s29
	s_sub_nc_u64 s[36:37], 0, s[28:29]
	s_wait_alu 0xfffe
	s_delay_alu instid0(SALU_CYCLE_1) | instskip(SKIP_1) | instid1(SALU_CYCLE_2)
	s_fmamk_f32 s2, s31, 0x4f800000, s2
	s_wait_alu 0xfffe
	v_s_rcp_f32 s2, s2
	s_delay_alu instid0(TRANS32_DEP_1) | instskip(SKIP_1) | instid1(SALU_CYCLE_2)
	s_mul_f32 s2, s2, 0x5f7ffffc
	s_wait_alu 0xfffe
	s_mul_f32 s31, s2, 0x2f800000
	s_wait_alu 0xfffe
	s_delay_alu instid0(SALU_CYCLE_2) | instskip(SKIP_1) | instid1(SALU_CYCLE_2)
	s_trunc_f32 s31, s31
	s_wait_alu 0xfffe
	s_fmamk_f32 s2, s31, 0xcf800000, s2
	s_cvt_u32_f32 s35, s31
	s_wait_alu 0xfffe
	s_delay_alu instid0(SALU_CYCLE_1) | instskip(SKIP_1) | instid1(SALU_CYCLE_2)
	s_cvt_u32_f32 s34, s2
	s_wait_alu 0xfffe
	s_mul_u64 s[38:39], s[36:37], s[34:35]
	s_wait_alu 0xfffe
	s_mul_hi_u32 s41, s34, s39
	s_mul_i32 s40, s34, s39
	s_mul_hi_u32 s2, s34, s38
	s_mul_i32 s33, s35, s38
	s_wait_alu 0xfffe
	s_add_nc_u64 s[40:41], s[2:3], s[40:41]
	s_mul_hi_u32 s31, s35, s38
	s_mul_hi_u32 s42, s35, s39
	s_add_co_u32 s2, s40, s33
	s_wait_alu 0xfffe
	s_add_co_ci_u32 s2, s41, s31
	s_mul_i32 s38, s35, s39
	s_add_co_ci_u32 s39, s42, 0
	s_wait_alu 0xfffe
	s_add_nc_u64 s[38:39], s[2:3], s[38:39]
	s_wait_alu 0xfffe
	v_add_co_u32 v4, s2, s34, s38
	s_delay_alu instid0(VALU_DEP_1) | instskip(SKIP_1) | instid1(VALU_DEP_1)
	s_cmp_lg_u32 s2, 0
	s_add_co_ci_u32 s35, s35, s39
	v_readfirstlane_b32 s34, v4
	s_wait_alu 0xfffe
	s_delay_alu instid0(VALU_DEP_1)
	s_mul_u64 s[36:37], s[36:37], s[34:35]
	s_wait_alu 0xfffe
	s_mul_hi_u32 s39, s34, s37
	s_mul_i32 s38, s34, s37
	s_mul_hi_u32 s2, s34, s36
	s_mul_i32 s33, s35, s36
	s_wait_alu 0xfffe
	s_add_nc_u64 s[38:39], s[2:3], s[38:39]
	s_mul_hi_u32 s31, s35, s36
	s_mul_hi_u32 s34, s35, s37
	s_wait_alu 0xfffe
	s_add_co_u32 s2, s38, s33
	s_add_co_ci_u32 s2, s39, s31
	s_mul_i32 s36, s35, s37
	s_add_co_ci_u32 s37, s34, 0
	s_wait_alu 0xfffe
	s_add_nc_u64 s[36:37], s[2:3], s[36:37]
	s_wait_alu 0xfffe
	v_add_co_u32 v4, s2, v4, s36
	s_delay_alu instid0(VALU_DEP_1) | instskip(SKIP_1) | instid1(VALU_DEP_1)
	s_cmp_lg_u32 s2, 0
	s_add_co_ci_u32 s2, s35, s37
	v_mul_hi_u32 v13, v5, v4
	s_wait_alu 0xfffe
	v_mad_co_u64_u32 v[7:8], null, v5, s2, 0
	v_mad_co_u64_u32 v[9:10], null, v6, v4, 0
	;; [unrolled: 1-line block ×3, first 2 shown]
	s_delay_alu instid0(VALU_DEP_3) | instskip(SKIP_1) | instid1(VALU_DEP_4)
	v_add_co_u32 v4, vcc_lo, v13, v7
	s_wait_alu 0xfffd
	v_add_co_ci_u32_e32 v7, vcc_lo, 0, v8, vcc_lo
	s_delay_alu instid0(VALU_DEP_2) | instskip(SKIP_1) | instid1(VALU_DEP_2)
	v_add_co_u32 v4, vcc_lo, v4, v9
	s_wait_alu 0xfffd
	v_add_co_ci_u32_e32 v4, vcc_lo, v7, v10, vcc_lo
	s_wait_alu 0xfffd
	v_add_co_ci_u32_e32 v7, vcc_lo, 0, v12, vcc_lo
	s_delay_alu instid0(VALU_DEP_2) | instskip(SKIP_1) | instid1(VALU_DEP_2)
	v_add_co_u32 v4, vcc_lo, v4, v11
	s_wait_alu 0xfffd
	v_add_co_ci_u32_e32 v9, vcc_lo, 0, v7, vcc_lo
	s_delay_alu instid0(VALU_DEP_2) | instskip(SKIP_1) | instid1(VALU_DEP_3)
	v_mul_lo_u32 v10, s29, v4
	v_mad_co_u64_u32 v[7:8], null, s28, v4, 0
	v_mul_lo_u32 v11, s28, v9
	s_delay_alu instid0(VALU_DEP_2) | instskip(NEXT) | instid1(VALU_DEP_2)
	v_sub_co_u32 v7, vcc_lo, v5, v7
	v_add3_u32 v8, v8, v11, v10
	s_delay_alu instid0(VALU_DEP_1) | instskip(SKIP_1) | instid1(VALU_DEP_1)
	v_sub_nc_u32_e32 v10, v6, v8
	s_wait_alu 0xfffd
	v_subrev_co_ci_u32_e64 v10, s2, s29, v10, vcc_lo
	v_add_co_u32 v11, s2, v4, 2
	s_wait_alu 0xf1ff
	v_add_co_ci_u32_e64 v12, s2, 0, v9, s2
	v_sub_co_u32 v13, s2, v7, s28
	v_sub_co_ci_u32_e32 v8, vcc_lo, v6, v8, vcc_lo
	s_wait_alu 0xf1ff
	v_subrev_co_ci_u32_e64 v10, s2, 0, v10, s2
	s_delay_alu instid0(VALU_DEP_3) | instskip(NEXT) | instid1(VALU_DEP_3)
	v_cmp_le_u32_e32 vcc_lo, s28, v13
	v_cmp_eq_u32_e64 s2, s29, v8
	s_wait_alu 0xfffd
	v_cndmask_b32_e64 v13, 0, -1, vcc_lo
	v_cmp_le_u32_e32 vcc_lo, s29, v10
	s_wait_alu 0xfffd
	v_cndmask_b32_e64 v14, 0, -1, vcc_lo
	v_cmp_le_u32_e32 vcc_lo, s28, v7
	;; [unrolled: 3-line block ×3, first 2 shown]
	s_wait_alu 0xfffd
	v_cndmask_b32_e64 v15, 0, -1, vcc_lo
	v_cmp_eq_u32_e32 vcc_lo, s29, v10
	s_wait_alu 0xf1ff
	s_delay_alu instid0(VALU_DEP_2)
	v_cndmask_b32_e64 v7, v15, v7, s2
	s_wait_alu 0xfffd
	v_cndmask_b32_e32 v10, v14, v13, vcc_lo
	v_add_co_u32 v13, vcc_lo, v4, 1
	s_wait_alu 0xfffd
	v_add_co_ci_u32_e32 v14, vcc_lo, 0, v9, vcc_lo
	s_delay_alu instid0(VALU_DEP_3) | instskip(SKIP_1) | instid1(VALU_DEP_2)
	v_cmp_ne_u32_e32 vcc_lo, 0, v10
	s_wait_alu 0xfffd
	v_cndmask_b32_e32 v8, v14, v12, vcc_lo
	v_cndmask_b32_e32 v10, v13, v11, vcc_lo
	v_cmp_ne_u32_e32 vcc_lo, 0, v7
	s_wait_alu 0xfffd
	s_delay_alu instid0(VALU_DEP_2)
	v_dual_cndmask_b32 v65, v9, v8 :: v_dual_cndmask_b32 v64, v4, v10
.LBB0_4:                                ;   in Loop: Header=BB0_2 Depth=1
	s_wait_alu 0xfffe
	s_and_not1_saveexec_b32 s2, s30
	s_cbranch_execz .LBB0_6
; %bb.5:                                ;   in Loop: Header=BB0_2 Depth=1
	v_cvt_f32_u32_e32 v4, s28
	s_sub_co_i32 s30, 0, s28
	v_mov_b32_e32 v65, v3
	s_delay_alu instid0(VALU_DEP_2) | instskip(NEXT) | instid1(TRANS32_DEP_1)
	v_rcp_iflag_f32_e32 v4, v4
	v_mul_f32_e32 v4, 0x4f7ffffe, v4
	s_delay_alu instid0(VALU_DEP_1) | instskip(SKIP_1) | instid1(VALU_DEP_1)
	v_cvt_u32_f32_e32 v4, v4
	s_wait_alu 0xfffe
	v_mul_lo_u32 v7, s30, v4
	s_delay_alu instid0(VALU_DEP_1) | instskip(NEXT) | instid1(VALU_DEP_1)
	v_mul_hi_u32 v7, v4, v7
	v_add_nc_u32_e32 v4, v4, v7
	s_delay_alu instid0(VALU_DEP_1) | instskip(NEXT) | instid1(VALU_DEP_1)
	v_mul_hi_u32 v4, v5, v4
	v_mul_lo_u32 v7, v4, s28
	v_add_nc_u32_e32 v8, 1, v4
	s_delay_alu instid0(VALU_DEP_2) | instskip(NEXT) | instid1(VALU_DEP_1)
	v_sub_nc_u32_e32 v7, v5, v7
	v_subrev_nc_u32_e32 v9, s28, v7
	v_cmp_le_u32_e32 vcc_lo, s28, v7
	s_wait_alu 0xfffd
	s_delay_alu instid0(VALU_DEP_2) | instskip(NEXT) | instid1(VALU_DEP_1)
	v_dual_cndmask_b32 v7, v7, v9 :: v_dual_cndmask_b32 v4, v4, v8
	v_cmp_le_u32_e32 vcc_lo, s28, v7
	s_delay_alu instid0(VALU_DEP_2) | instskip(SKIP_1) | instid1(VALU_DEP_1)
	v_add_nc_u32_e32 v8, 1, v4
	s_wait_alu 0xfffd
	v_cndmask_b32_e32 v64, v4, v8, vcc_lo
.LBB0_6:                                ;   in Loop: Header=BB0_2 Depth=1
	s_wait_alu 0xfffe
	s_or_b32 exec_lo, exec_lo, s2
	v_mul_lo_u32 v4, v65, s28
	s_delay_alu instid0(VALU_DEP_2)
	v_mul_lo_u32 v9, v64, s29
	s_load_b64 s[30:31], s[22:23], 0x0
	v_mad_co_u64_u32 v[7:8], null, v64, s28, 0
	s_load_b64 s[28:29], s[20:21], 0x0
	s_add_nc_u64 s[24:25], s[24:25], 1
	s_add_nc_u64 s[20:21], s[20:21], 8
	s_wait_alu 0xfffe
	v_cmp_ge_u64_e64 s2, s[24:25], s[10:11]
	s_add_nc_u64 s[22:23], s[22:23], 8
	s_add_nc_u64 s[26:27], s[26:27], 8
	v_add3_u32 v4, v8, v9, v4
	v_sub_co_u32 v5, vcc_lo, v5, v7
	s_wait_alu 0xfffd
	s_delay_alu instid0(VALU_DEP_2) | instskip(SKIP_2) | instid1(VALU_DEP_1)
	v_sub_co_ci_u32_e32 v4, vcc_lo, v6, v4, vcc_lo
	s_and_b32 vcc_lo, exec_lo, s2
	s_wait_kmcnt 0x0
	v_mul_lo_u32 v6, s30, v4
	v_mul_lo_u32 v7, s31, v5
	v_mad_co_u64_u32 v[1:2], null, s30, v5, v[1:2]
	v_mul_lo_u32 v4, s28, v4
	v_mul_lo_u32 v8, s29, v5
	v_mad_co_u64_u32 v[62:63], null, s28, v5, v[62:63]
	s_delay_alu instid0(VALU_DEP_4) | instskip(NEXT) | instid1(VALU_DEP_2)
	v_add3_u32 v2, v7, v2, v6
	v_add3_u32 v63, v8, v63, v4
	s_wait_alu 0xfffe
	s_cbranch_vccnz .LBB0_8
; %bb.7:                                ;   in Loop: Header=BB0_2 Depth=1
	v_dual_mov_b32 v5, v64 :: v_dual_mov_b32 v6, v65
	s_branch .LBB0_2
.LBB0_8:
	s_load_b64 s[0:1], s[0:1], 0x28
	v_mul_hi_u32 v3, 0x1c71c71d, v0
	s_lshl_b64 s[10:11], s[10:11], 3
                                        ; implicit-def: $vgpr70
                                        ; implicit-def: $vgpr71
                                        ; implicit-def: $vgpr76
	s_wait_alu 0xfffe
	s_add_nc_u64 s[2:3], s[14:15], s[10:11]
                                        ; implicit-def: $sgpr14
	s_wait_kmcnt 0x0
	v_cmp_gt_u64_e32 vcc_lo, s[0:1], v[64:65]
	v_cmp_le_u64_e64 s0, s[0:1], v[64:65]
	s_delay_alu instid0(VALU_DEP_1)
	s_and_saveexec_b32 s1, s0
	s_wait_alu 0xfffe
	s_xor_b32 s0, exec_lo, s1
; %bb.9:
	v_mul_u32_u24_e32 v1, 9, v3
	s_mov_b32 s14, 0
                                        ; implicit-def: $vgpr3
	s_delay_alu instid0(VALU_DEP_1) | instskip(NEXT) | instid1(VALU_DEP_1)
	v_sub_nc_u32_e32 v70, v0, v1
                                        ; implicit-def: $vgpr0
                                        ; implicit-def: $vgpr1_vgpr2
	v_add_nc_u32_e32 v71, 9, v70
	v_add_nc_u32_e32 v76, 18, v70
; %bb.10:
	s_wait_alu 0xfffe
	s_or_saveexec_b32 s1, s0
	s_load_b64 s[2:3], s[2:3], 0x0
	v_mov_b32_e32 v72, s14
                                        ; implicit-def: $vgpr40_vgpr41
                                        ; implicit-def: $vgpr48_vgpr49
                                        ; implicit-def: $vgpr44_vgpr45
                                        ; implicit-def: $vgpr24_vgpr25
                                        ; implicit-def: $vgpr32_vgpr33
                                        ; implicit-def: $vgpr28_vgpr29
                                        ; implicit-def: $vgpr20_vgpr21
                                        ; implicit-def: $vgpr36_vgpr37
                                        ; implicit-def: $vgpr16_vgpr17
                                        ; implicit-def: $vgpr12_vgpr13
                                        ; implicit-def: $vgpr8_vgpr9
                                        ; implicit-def: $vgpr4_vgpr5
	s_xor_b32 exec_lo, exec_lo, s1
	s_cbranch_execz .LBB0_14
; %bb.11:
	v_mul_u32_u24_e32 v3, 9, v3
	s_add_nc_u64 s[10:11], s[12:13], s[10:11]
	v_lshlrev_b64_e32 v[1:2], 4, v[1:2]
	s_load_b64 s[10:11], s[10:11], 0x0
                                        ; implicit-def: $vgpr42_vgpr43
                                        ; implicit-def: $vgpr46_vgpr47
	s_delay_alu instid0(VALU_DEP_2) | instskip(NEXT) | instid1(VALU_DEP_1)
	v_sub_nc_u32_e32 v70, v0, v3
	v_mad_co_u64_u32 v[3:4], null, s18, v70, 0
	v_add_nc_u32_e32 v9, 30, v70
	v_add_nc_u32_e32 v76, 18, v70
	v_or_b32_e32 v30, 48, v70
	s_delay_alu instid0(VALU_DEP_4) | instskip(NEXT) | instid1(VALU_DEP_4)
	v_dual_mov_b32 v0, v4 :: v_dual_add_nc_u32 v31, 0x4e, v70
	v_mad_co_u64_u32 v[5:6], null, s18, v9, 0
	v_add_nc_u32_e32 v17, 60, v70
	v_mad_co_u64_u32 v[22:23], null, s18, v76, 0
	s_delay_alu instid0(VALU_DEP_4)
	v_mad_co_u64_u32 v[14:15], null, s19, v70, v[0:1]
	s_wait_kmcnt 0x0
	v_mul_lo_u32 v4, s11, v64
	v_mov_b32_e32 v0, v6
	v_mad_co_u64_u32 v[7:8], null, s18, v17, 0
	v_add_nc_u32_e32 v71, 9, v70
	v_mul_lo_u32 v16, s10, v65
	v_mad_co_u64_u32 v[12:13], null, s10, v64, 0
	v_mad_co_u64_u32 v[24:25], null, s18, v30, 0
	v_mov_b32_e32 v6, v8
	v_mad_co_u64_u32 v[10:11], null, s18, v71, 0
	s_delay_alu instid0(VALU_DEP_4)
	v_add3_u32 v13, v13, v16, v4
	v_mad_co_u64_u32 v[15:16], null, s19, v9, v[0:1]
	v_mov_b32_e32 v4, v14
	v_mad_co_u64_u32 v[16:17], null, s19, v17, v[6:7]
	v_dual_mov_b32 v8, v11 :: v_dual_add_nc_u32 v17, 0x45, v70
	v_lshlrev_b64_e32 v[11:12], 4, v[12:13]
	v_mov_b32_e32 v6, v15
	v_lshlrev_b64_e32 v[3:4], 4, v[3:4]
	s_delay_alu instid0(VALU_DEP_4)
	v_mad_co_u64_u32 v[13:14], null, s19, v71, v[8:9]
	v_add_nc_u32_e32 v20, 39, v70
	v_add_co_u32 v0, s0, s4, v11
	s_wait_alu 0xf1ff
	v_add_co_ci_u32_e64 v9, s0, s5, v12, s0
	v_lshlrev_b64_e32 v[5:6], 4, v[5:6]
	s_delay_alu instid0(VALU_DEP_3) | instskip(SKIP_1) | instid1(VALU_DEP_3)
	v_add_co_u32 v0, s0, v0, v1
	s_wait_alu 0xf1ff
	v_add_co_ci_u32_e64 v1, s0, v9, v2, s0
	v_mov_b32_e32 v8, v16
	s_delay_alu instid0(VALU_DEP_3) | instskip(SKIP_1) | instid1(VALU_DEP_3)
	v_add_co_u32 v2, s0, v0, v3
	s_wait_alu 0xf1ff
	v_add_co_ci_u32_e64 v3, s0, v1, v4, s0
	v_add_co_u32 v11, s0, v0, v5
	s_wait_alu 0xf1ff
	v_add_co_ci_u32_e64 v12, s0, v1, v6, s0
	v_lshlrev_b64_e32 v[14:15], 4, v[7:8]
	s_clause 0x1
	global_load_b128 v[2:5], v[2:3], off
	global_load_b128 v[6:9], v[11:12], off
	v_mov_b32_e32 v11, v13
	v_mad_co_u64_u32 v[18:19], null, s18, v20, 0
	v_add_co_u32 v12, s0, v0, v14
	s_wait_alu 0xf1ff
	v_add_co_ci_u32_e64 v13, s0, v1, v15, s0
	v_lshlrev_b64_e32 v[10:11], 4, v[10:11]
	s_mov_b32 s4, exec_lo
	s_delay_alu instid0(VALU_DEP_4) | instskip(NEXT) | instid1(VALU_DEP_1)
	v_mov_b32_e32 v14, v19
	v_mad_co_u64_u32 v[14:15], null, s19, v20, v[14:15]
	v_mad_co_u64_u32 v[20:21], null, s18, v17, 0
	s_delay_alu instid0(VALU_DEP_4) | instskip(SKIP_3) | instid1(VALU_DEP_4)
	v_add_co_u32 v15, s0, v0, v10
	s_wait_alu 0xf1ff
	v_add_co_ci_u32_e64 v16, s0, v1, v11, s0
	v_mov_b32_e32 v11, v23
	v_dual_mov_b32 v19, v14 :: v_dual_mov_b32 v10, v21
	s_delay_alu instid0(VALU_DEP_1) | instskip(NEXT) | instid1(VALU_DEP_2)
	v_lshlrev_b64_e32 v[18:19], 4, v[18:19]
	v_mad_co_u64_u32 v[26:27], null, s19, v17, v[10:11]
	v_mad_co_u64_u32 v[27:28], null, s19, v76, v[11:12]
	;; [unrolled: 1-line block ×3, first 2 shown]
	s_delay_alu instid0(VALU_DEP_4) | instskip(NEXT) | instid1(VALU_DEP_4)
	v_add_co_u32 v18, s0, v0, v18
	v_mov_b32_e32 v21, v26
	v_mad_co_u64_u32 v[25:26], null, s19, v30, v[25:26]
	s_delay_alu instid0(VALU_DEP_4) | instskip(NEXT) | instid1(VALU_DEP_3)
	v_dual_mov_b32 v23, v27 :: v_dual_mov_b32 v26, v29
	v_lshlrev_b64_e32 v[20:21], 4, v[20:21]
	s_wait_alu 0xf1ff
	v_add_co_ci_u32_e64 v19, s0, v1, v19, s0
	s_delay_alu instid0(VALU_DEP_3) | instskip(SKIP_1) | instid1(VALU_DEP_4)
	v_lshlrev_b64_e32 v[22:23], 4, v[22:23]
	v_mad_co_u64_u32 v[26:27], null, s19, v31, v[26:27]
	v_add_co_u32 v20, s0, v0, v20
	v_lshlrev_b64_e32 v[24:25], 4, v[24:25]
	s_wait_alu 0xf1ff
	v_add_co_ci_u32_e64 v21, s0, v1, v21, s0
	v_add_co_u32 v22, s0, v0, v22
	v_mov_b32_e32 v29, v26
	s_wait_alu 0xf1ff
	v_add_co_ci_u32_e64 v23, s0, v1, v23, s0
	v_add_co_u32 v24, s0, v0, v24
	s_delay_alu instid0(VALU_DEP_3)
	v_lshlrev_b64_e32 v[26:27], 4, v[28:29]
	s_wait_alu 0xf1ff
	v_add_co_ci_u32_e64 v25, s0, v1, v25, s0
	s_clause 0x1
	global_load_b128 v[10:13], v[12:13], off
	global_load_b128 v[14:17], v[15:16], off
	v_add_co_u32 v38, s0, v0, v26
	s_wait_alu 0xf1ff
	v_add_co_ci_u32_e64 v39, s0, v1, v27, s0
	s_clause 0x4
	global_load_b128 v[34:37], v[18:19], off
	global_load_b128 v[18:21], v[20:21], off
	;; [unrolled: 1-line block ×5, first 2 shown]
                                        ; implicit-def: $vgpr38_vgpr39
	v_cmpx_gt_u32_e32 3, v70
	s_cbranch_execz .LBB0_13
; %bb.12:
	v_add_nc_u32_e32 v44, 27, v70
	v_add_nc_u32_e32 v46, 57, v70
	;; [unrolled: 1-line block ×3, first 2 shown]
	s_delay_alu instid0(VALU_DEP_3) | instskip(NEXT) | instid1(VALU_DEP_3)
	v_mad_co_u64_u32 v[38:39], null, s18, v44, 0
	v_mad_co_u64_u32 v[40:41], null, s18, v46, 0
	s_delay_alu instid0(VALU_DEP_3) | instskip(NEXT) | instid1(VALU_DEP_2)
	v_mad_co_u64_u32 v[42:43], null, s18, v47, 0
	v_mad_co_u64_u32 v[44:45], null, s19, v44, v[39:40]
	s_delay_alu instid0(VALU_DEP_1) | instskip(NEXT) | instid1(VALU_DEP_3)
	v_mov_b32_e32 v39, v44
	v_mad_co_u64_u32 v[45:46], null, s19, v46, v[41:42]
	s_delay_alu instid0(VALU_DEP_4) | instskip(NEXT) | instid1(VALU_DEP_3)
	v_mad_co_u64_u32 v[46:47], null, s19, v47, v[43:44]
	v_lshlrev_b64_e32 v[38:39], 4, v[38:39]
	s_delay_alu instid0(VALU_DEP_3) | instskip(NEXT) | instid1(VALU_DEP_3)
	v_mov_b32_e32 v41, v45
	v_mov_b32_e32 v43, v46
	s_delay_alu instid0(VALU_DEP_3) | instskip(NEXT) | instid1(VALU_DEP_3)
	v_add_co_u32 v38, s0, v0, v38
	v_lshlrev_b64_e32 v[40:41], 4, v[40:41]
	s_wait_alu 0xf1ff
	v_add_co_ci_u32_e64 v39, s0, v1, v39, s0
	v_lshlrev_b64_e32 v[42:43], 4, v[42:43]
	s_delay_alu instid0(VALU_DEP_3) | instskip(SKIP_2) | instid1(VALU_DEP_3)
	v_add_co_u32 v40, s0, v0, v40
	s_wait_alu 0xf1ff
	v_add_co_ci_u32_e64 v41, s0, v1, v41, s0
	v_add_co_u32 v0, s0, v0, v42
	s_wait_alu 0xf1ff
	v_add_co_ci_u32_e64 v1, s0, v1, v43, s0
	s_clause 0x2
	global_load_b128 v[42:45], v[38:39], off
	global_load_b128 v[46:49], v[40:41], off
	;; [unrolled: 1-line block ×3, first 2 shown]
.LBB0_13:
	s_wait_alu 0xfffe
	s_or_b32 exec_lo, exec_lo, s4
	v_mov_b32_e32 v72, v70
.LBB0_14:
	s_or_b32 exec_lo, exec_lo, s1
	s_wait_loadcnt 0x6
	v_add_f64_e32 v[0:1], v[10:11], v[6:7]
	s_wait_loadcnt 0x3
	v_add_f64_e32 v[51:52], v[18:19], v[34:35]
	;; [unrolled: 2-line block ×3, first 2 shown]
	v_add_f64_e32 v[55:56], v[38:39], v[46:47]
	v_add_f64_e32 v[57:58], v[6:7], v[2:3]
	v_add_f64_e64 v[59:60], v[8:9], -v[12:13]
	v_add_f64_e32 v[66:67], v[34:35], v[14:15]
	v_add_f64_e32 v[68:69], v[30:31], v[26:27]
	;; [unrolled: 1-line block ×3, first 2 shown]
	v_add_f64_e64 v[77:78], v[36:37], -v[20:21]
	s_mov_b32 s0, 0xe8584caa
	s_mov_b32 s1, 0x3febb67a
	;; [unrolled: 1-line block ×3, first 2 shown]
	s_wait_alu 0xfffe
	s_mov_b32 s4, s0
	v_fma_f64 v[2:3], v[0:1], -0.5, v[2:3]
	v_fma_f64 v[14:15], v[51:52], -0.5, v[14:15]
	v_add_f64_e64 v[51:52], v[32:33], -v[24:25]
	v_fma_f64 v[26:27], v[53:54], -0.5, v[26:27]
	v_add_f64_e64 v[53:54], v[48:49], -v[40:41]
	v_fma_f64 v[42:43], v[55:56], -0.5, v[42:43]
	v_mul_hi_u32 v0, 0x24924925, v50
	v_add_f64_e32 v[55:56], v[10:11], v[57:58]
	v_add_f64_e32 v[57:58], v[18:19], v[66:67]
	v_add_f64_e32 v[66:67], v[22:23], v[68:69]
	s_delay_alu instid0(VALU_DEP_4) | instskip(NEXT) | instid1(VALU_DEP_1)
	v_sub_nc_u32_e32 v1, v50, v0
	v_lshrrev_b32_e32 v1, 1, v1
	s_delay_alu instid0(VALU_DEP_1) | instskip(NEXT) | instid1(VALU_DEP_1)
	v_add_nc_u32_e32 v0, v1, v0
	v_lshrrev_b32_e32 v61, 2, v0
	v_add_f64_e32 v[0:1], v[38:39], v[73:74]
	v_fma_f64 v[68:69], v[59:60], s[0:1], v[2:3]
	s_wait_alu 0xfffe
	v_fma_f64 v[59:60], v[59:60], s[4:5], v[2:3]
	v_fma_f64 v[73:74], v[77:78], s[0:1], v[14:15]
	;; [unrolled: 1-line block ×7, first 2 shown]
	v_mul_lo_u32 v14, v61, 7
	v_mad_i32_i24 v15, v71, 24, 0
	v_mad_i32_i24 v42, v76, 24, 0
	v_cmp_gt_u32_e64 s0, 3, v70
	s_delay_alu instid0(VALU_DEP_4) | instskip(NEXT) | instid1(VALU_DEP_1)
	v_sub_nc_u32_e32 v14, v50, v14
	v_mul_u32_u24_e32 v43, 0x5a, v14
	v_mad_u32_u24 v14, v70, 24, 0
	s_delay_alu instid0(VALU_DEP_2) | instskip(NEXT) | instid1(VALU_DEP_1)
	v_lshlrev_b32_e32 v77, 3, v43
	v_add_nc_u32_e32 v81, v14, v77
	v_add_nc_u32_e32 v79, v15, v77
	;; [unrolled: 1-line block ×3, first 2 shown]
	ds_store_2addr_b64 v81, v[55:56], v[68:69] offset1:1
	ds_store_b64 v81, v[59:60] offset:16
	ds_store_2addr_b64 v79, v[57:58], v[73:74] offset1:1
	ds_store_b64 v79, v[82:83] offset:16
	;; [unrolled: 2-line block ×3, first 2 shown]
	s_and_saveexec_b32 s1, s0
	s_cbranch_execz .LBB0_16
; %bb.15:
	v_lshl_add_u32 v43, v43, 3, v14
	ds_store_2addr_b64 v43, v[0:1], v[2:3] offset0:81 offset1:82
	ds_store_b64 v43, v[26:27] offset:664
.LBB0_16:
	s_wait_alu 0xfffe
	s_or_b32 exec_lo, exec_lo, s1
	v_lshlrev_b32_e32 v43, 4, v70
	v_lshlrev_b32_e32 v50, 4, v71
	;; [unrolled: 1-line block ×4, first 2 shown]
	global_wb scope:SCOPE_SE
	s_wait_dscnt 0x0
	v_sub_nc_u32_e32 v14, v14, v43
	v_sub_nc_u32_e32 v15, v15, v50
	;; [unrolled: 1-line block ×3, first 2 shown]
	v_add3_u32 v73, 0, v77, v78
	s_wait_kmcnt 0x0
	s_barrier_signal -1
	v_add_nc_u32_e32 v82, v14, v77
	v_add_nc_u32_e32 v75, v15, v77
	s_barrier_wait -1
	global_inv scope:SCOPE_SE
	v_add_nc_u32_e32 v74, v42, v77
	ds_load_2addr_b64 v[58:61], v82 offset0:30 offset1:39
	ds_load_2addr_b64 v[50:53], v82 offset0:48 offset1:60
	;; [unrolled: 1-line block ×3, first 2 shown]
	ds_load_b64 v[68:69], v73
	ds_load_b64 v[66:67], v75
	;; [unrolled: 1-line block ×3, first 2 shown]
	s_and_saveexec_b32 s1, s0
	s_cbranch_execz .LBB0_18
; %bb.17:
	ds_load_2addr_b64 v[0:3], v82 offset0:27 offset1:57
	ds_load_b64 v[26:27], v82 offset:696
.LBB0_18:
	s_wait_alu 0xfffe
	s_or_b32 exec_lo, exec_lo, s1
	v_add_f64_e32 v[14:15], v[12:13], v[8:9]
	v_add_f64_e32 v[83:84], v[20:21], v[36:37]
	;; [unrolled: 1-line block ×5, first 2 shown]
	v_add_f64_e64 v[6:7], v[6:7], -v[10:11]
	v_add_f64_e32 v[10:11], v[36:37], v[16:17]
	v_add_f64_e32 v[32:33], v[32:33], v[28:29]
	;; [unrolled: 1-line block ×3, first 2 shown]
	s_mov_b32 s4, 0xe8584caa
	s_mov_b32 s5, 0xbfebb67a
	;; [unrolled: 1-line block ×3, first 2 shown]
	s_wait_alu 0xfffe
	s_mov_b32 s10, s4
	global_wb scope:SCOPE_SE
	s_wait_dscnt 0x0
	s_barrier_signal -1
	s_barrier_wait -1
	global_inv scope:SCOPE_SE
	v_fma_f64 v[4:5], v[14:15], -0.5, v[4:5]
	v_add_f64_e64 v[14:15], v[34:35], -v[18:19]
	v_fma_f64 v[16:17], v[83:84], -0.5, v[16:17]
	v_add_f64_e64 v[18:19], v[30:31], -v[22:23]
	;; [unrolled: 2-line block ×3, first 2 shown]
	v_fma_f64 v[30:31], v[87:88], -0.5, v[44:45]
	v_add_f64_e32 v[8:9], v[12:13], v[8:9]
	v_add_f64_e32 v[10:11], v[20:21], v[10:11]
	;; [unrolled: 1-line block ×4, first 2 shown]
	v_fma_f64 v[24:25], v[6:7], s[4:5], v[4:5]
	s_wait_alu 0xfffe
	v_fma_f64 v[4:5], v[6:7], s[10:11], v[4:5]
	v_fma_f64 v[6:7], v[14:15], s[4:5], v[16:17]
	;; [unrolled: 1-line block ×7, first 2 shown]
	v_add_nc_u32_e32 v30, 27, v70
	ds_store_2addr_b64 v81, v[8:9], v[24:25] offset1:1
	ds_store_b64 v81, v[4:5] offset:16
	ds_store_2addr_b64 v79, v[10:11], v[6:7] offset1:1
	ds_store_b64 v79, v[16:17] offset:16
	;; [unrolled: 2-line block ×3, first 2 shown]
	s_and_saveexec_b32 s1, s0
	s_cbranch_execz .LBB0_20
; %bb.19:
	v_mul_u32_u24_e32 v4, 24, v30
	s_delay_alu instid0(VALU_DEP_1)
	v_add3_u32 v4, 0, v4, v77
	ds_store_2addr_b64 v4, v[12:13], v[14:15] offset1:1
	ds_store_b64 v4, v[28:29] offset:16
.LBB0_20:
	s_wait_alu 0xfffe
	s_or_b32 exec_lo, exec_lo, s1
	global_wb scope:SCOPE_SE
	s_wait_dscnt 0x0
	s_barrier_signal -1
	s_barrier_wait -1
	global_inv scope:SCOPE_SE
	ds_load_2addr_b64 v[16:19], v82 offset0:30 offset1:39
	ds_load_2addr_b64 v[8:11], v82 offset0:48 offset1:60
	;; [unrolled: 1-line block ×3, first 2 shown]
	ds_load_b64 v[24:25], v73
	ds_load_b64 v[22:23], v75
	;; [unrolled: 1-line block ×3, first 2 shown]
	s_and_saveexec_b32 s1, s0
	s_cbranch_execz .LBB0_22
; %bb.21:
	ds_load_2addr_b64 v[12:15], v82 offset0:27 offset1:57
	ds_load_b64 v[28:29], v82 offset:696
.LBB0_22:
	s_wait_alu 0xfffe
	s_or_b32 exec_lo, exec_lo, s1
	v_and_b32_e32 v31, 0xff, v70
	v_and_b32_e32 v32, 0xff, v71
	;; [unrolled: 1-line block ×3, first 2 shown]
	s_mov_b32 s4, 0xe8584caa
	s_mov_b32 s5, 0x3febb67a
	v_mul_lo_u16 v31, 0xab, v31
	v_mul_lo_u16 v32, 0xab, v32
	;; [unrolled: 1-line block ×3, first 2 shown]
	s_mov_b32 s11, 0xbfebb67a
	s_wait_alu 0xfffe
	s_mov_b32 s10, s4
	v_lshrrev_b16 v109, 9, v31
	v_lshrrev_b16 v110, 9, v32
	;; [unrolled: 1-line block ×3, first 2 shown]
	s_delay_alu instid0(VALU_DEP_3) | instskip(NEXT) | instid1(VALU_DEP_3)
	v_mul_lo_u16 v31, v109, 3
	v_mul_lo_u16 v32, v110, 3
	s_delay_alu instid0(VALU_DEP_3) | instskip(NEXT) | instid1(VALU_DEP_3)
	v_mul_lo_u16 v33, v111, 3
	v_sub_nc_u16 v31, v70, v31
	s_delay_alu instid0(VALU_DEP_3) | instskip(NEXT) | instid1(VALU_DEP_3)
	v_sub_nc_u16 v32, v71, v32
	v_sub_nc_u16 v33, v76, v33
	s_delay_alu instid0(VALU_DEP_3) | instskip(NEXT) | instid1(VALU_DEP_3)
	v_and_b32_e32 v71, 0xff, v31
	v_and_b32_e32 v76, 0xff, v32
	s_delay_alu instid0(VALU_DEP_3) | instskip(NEXT) | instid1(VALU_DEP_3)
	v_and_b32_e32 v112, 0xff, v33
	v_lshlrev_b32_e32 v31, 5, v71
	s_delay_alu instid0(VALU_DEP_3) | instskip(NEXT) | instid1(VALU_DEP_3)
	v_lshlrev_b32_e32 v32, 5, v76
	v_lshlrev_b32_e32 v33, 5, v112
	s_clause 0x5
	global_load_b128 v[44:47], v31, s[8:9]
	global_load_b128 v[79:82], v31, s[8:9] offset:16
	global_load_b128 v[83:86], v32, s[8:9]
	global_load_b128 v[87:90], v32, s[8:9] offset:16
	global_load_b128 v[91:94], v33, s[8:9]
	global_load_b128 v[95:98], v33, s[8:9] offset:16
	v_and_b32_e32 v31, 0xff, v30
	s_delay_alu instid0(VALU_DEP_1) | instskip(NEXT) | instid1(VALU_DEP_1)
	v_mul_lo_u16 v31, 0xab, v31
	v_lshrrev_b16 v31, 9, v31
	s_delay_alu instid0(VALU_DEP_1) | instskip(NEXT) | instid1(VALU_DEP_1)
	v_mul_lo_u16 v31, v31, 3
	v_sub_nc_u16 v30, v30, v31
	s_delay_alu instid0(VALU_DEP_1) | instskip(NEXT) | instid1(VALU_DEP_1)
	v_and_b32_e32 v113, 0xff, v30
	v_lshlrev_b32_e32 v30, 5, v113
	s_clause 0x1
	global_load_b128 v[99:102], v30, s[8:9]
	global_load_b128 v[103:106], v30, s[8:9] offset:16
	global_wb scope:SCOPE_SE
	s_wait_loadcnt_dscnt 0x0
	s_barrier_signal -1
	s_barrier_wait -1
	global_inv scope:SCOPE_SE
	v_mul_f64_e32 v[30:31], v[16:17], v[46:47]
	v_mul_f64_e32 v[32:33], v[10:11], v[81:82]
	;; [unrolled: 1-line block ×12, first 2 shown]
	v_fma_f64 v[38:39], v[58:59], v[44:45], -v[30:31]
	v_fma_f64 v[40:41], v[52:53], v[79:80], -v[32:33]
	;; [unrolled: 1-line block ×6, first 2 shown]
	v_fma_f64 v[16:17], v[16:17], v[44:45], v[46:47]
	v_fma_f64 v[10:11], v[10:11], v[79:80], v[81:82]
	;; [unrolled: 1-line block ×6, first 2 shown]
	v_mul_f64_e32 v[50:51], v[14:15], v[101:102]
	v_mul_f64_e32 v[52:53], v[2:3], v[101:102]
	;; [unrolled: 1-line block ×4, first 2 shown]
	v_add_f64_e32 v[56:57], v[68:69], v[38:39]
	v_add_f64_e32 v[44:45], v[38:39], v[40:41]
	;; [unrolled: 1-line block ×6, first 2 shown]
	v_add_f64_e64 v[58:59], v[16:17], -v[10:11]
	v_fma_f64 v[14:15], v[14:15], v[99:100], v[52:53]
	v_fma_f64 v[26:27], v[26:27], v[103:104], -v[54:55]
	v_fma_f64 v[28:29], v[28:29], v[103:104], v[81:82]
	v_fma_f64 v[44:45], v[44:45], -0.5, v[68:69]
	v_add_f64_e64 v[68:69], v[18:19], -v[4:5]
	v_fma_f64 v[46:47], v[46:47], -0.5, v[66:67]
	v_add_f64_e64 v[66:67], v[8:9], -v[6:7]
	v_fma_f64 v[48:49], v[48:49], -0.5, v[42:43]
	v_fma_f64 v[42:43], v[2:3], v[99:100], -v[50:51]
	v_add_f64_e32 v[2:3], v[56:57], v[40:41]
	v_add_f64_e32 v[50:51], v[60:61], v[36:37]
	;; [unrolled: 1-line block ×3, first 2 shown]
	v_fma_f64 v[54:55], v[58:59], s[4:5], v[44:45]
	s_wait_alu 0xfffe
	v_fma_f64 v[56:57], v[58:59], s[10:11], v[44:45]
	v_fma_f64 v[58:59], v[68:69], s[4:5], v[46:47]
	;; [unrolled: 1-line block ×5, first 2 shown]
	v_and_b32_e32 v44, 0xffff, v109
	v_and_b32_e32 v45, 0xffff, v110
	;; [unrolled: 1-line block ×3, first 2 shown]
	s_delay_alu instid0(VALU_DEP_3) | instskip(NEXT) | instid1(VALU_DEP_3)
	v_mad_u32_u24 v47, 0x48, v44, 0
	v_mad_u32_u24 v66, 0x48, v45, 0
	s_delay_alu instid0(VALU_DEP_3) | instskip(SKIP_4) | instid1(VALU_DEP_4)
	v_mad_u32_u24 v67, 0x48, v46, 0
	v_lshlrev_b32_e32 v45, 3, v71
	v_lshlrev_b32_e32 v46, 3, v76
	;; [unrolled: 1-line block ×4, first 2 shown]
	v_add3_u32 v45, v47, v45, v77
	s_delay_alu instid0(VALU_DEP_4) | instskip(NEXT) | instid1(VALU_DEP_4)
	v_add3_u32 v46, v66, v46, v77
	v_add3_u32 v47, v67, v71, v77
	ds_store_2addr_b64 v45, v[2:3], v[54:55] offset1:3
	ds_store_b64 v45, v[56:57] offset:48
	ds_store_2addr_b64 v46, v[50:51], v[58:59] offset1:3
	ds_store_b64 v46, v[60:61] offset:48
	;; [unrolled: 2-line block ×3, first 2 shown]
	s_and_saveexec_b32 s1, s0
	s_cbranch_execz .LBB0_24
; %bb.23:
	v_add_f64_e32 v[2:3], v[42:43], v[26:27]
	v_add_f64_e64 v[48:49], v[14:15], -v[28:29]
	v_add_f64_e32 v[50:51], v[0:1], v[42:43]
	s_delay_alu instid0(VALU_DEP_3) | instskip(NEXT) | instid1(VALU_DEP_2)
	v_fma_f64 v[0:1], v[2:3], -0.5, v[0:1]
	v_add_f64_e32 v[2:3], v[50:51], v[26:27]
	s_delay_alu instid0(VALU_DEP_2)
	v_fma_f64 v[50:51], v[48:49], s[4:5], v[0:1]
	v_fma_f64 v[0:1], v[48:49], s[10:11], v[0:1]
	v_add3_u32 v48, 0, v44, v77
	ds_store_2addr_b64 v48, v[2:3], v[50:51] offset0:81 offset1:84
	ds_store_b64 v48, v[0:1] offset:696
.LBB0_24:
	s_wait_alu 0xfffe
	s_or_b32 exec_lo, exec_lo, s1
	v_add_f64_e32 v[0:1], v[16:17], v[10:11]
	v_add_f64_e32 v[2:3], v[18:19], v[4:5]
	;; [unrolled: 1-line block ×4, first 2 shown]
	v_add_f64_e64 v[38:39], v[38:39], -v[40:41]
	v_add_f64_e32 v[18:19], v[22:23], v[18:19]
	v_add_f64_e32 v[8:9], v[20:21], v[8:9]
	v_add3_u32 v76, 0, v78, v77
	global_wb scope:SCOPE_SE
	s_wait_dscnt 0x0
	s_barrier_signal -1
	s_barrier_wait -1
	global_inv scope:SCOPE_SE
	v_fma_f64 v[0:1], v[0:1], -0.5, v[24:25]
	v_add_f64_e64 v[24:25], v[32:33], -v[36:37]
	v_fma_f64 v[2:3], v[2:3], -0.5, v[22:23]
	v_add_f64_e64 v[22:23], v[30:31], -v[34:35]
	v_fma_f64 v[20:21], v[48:49], -0.5, v[20:21]
	v_add_f64_e32 v[16:17], v[16:17], v[10:11]
	v_add_f64_e32 v[18:19], v[18:19], v[4:5]
	;; [unrolled: 1-line block ×3, first 2 shown]
	v_fma_f64 v[32:33], v[38:39], s[10:11], v[0:1]
	v_fma_f64 v[34:35], v[38:39], s[4:5], v[0:1]
	;; [unrolled: 1-line block ×6, first 2 shown]
	ds_load_2addr_b64 v[4:7], v76 offset0:27 offset1:36
	ds_load_2addr_b64 v[8:11], v76 offset0:45 offset1:54
	;; [unrolled: 1-line block ×3, first 2 shown]
	ds_load_b64 v[56:57], v73
	ds_load_b64 v[60:61], v75
	;; [unrolled: 1-line block ×3, first 2 shown]
	ds_load_b64 v[66:67], v76 offset:648
	global_wb scope:SCOPE_SE
	s_wait_dscnt 0x0
	s_barrier_signal -1
	s_barrier_wait -1
	global_inv scope:SCOPE_SE
	ds_store_2addr_b64 v45, v[16:17], v[32:33] offset1:3
	ds_store_b64 v45, v[34:35] offset:48
	ds_store_2addr_b64 v46, v[18:19], v[36:37] offset1:3
	ds_store_b64 v46, v[24:25] offset:48
	;; [unrolled: 2-line block ×3, first 2 shown]
	s_and_saveexec_b32 s1, s0
	s_cbranch_execz .LBB0_26
; %bb.25:
	v_add_f64_e32 v[16:17], v[14:15], v[28:29]
	v_add_f64_e64 v[18:19], v[42:43], -v[26:27]
	s_mov_b32 s5, 0xbfebb67a
	s_mov_b32 s4, 0xe8584caa
	s_delay_alu instid0(VALU_DEP_2) | instskip(SKIP_2) | instid1(VALU_DEP_2)
	v_fma_f64 v[16:17], v[16:17], -0.5, v[12:13]
	v_add_f64_e32 v[12:13], v[12:13], v[14:15]
	s_wait_alu 0xfffe
	v_fma_f64 v[14:15], v[18:19], s[4:5], v[16:17]
	s_mov_b32 s5, 0x3febb67a
	s_delay_alu instid0(VALU_DEP_2)
	v_add_f64_e32 v[12:13], v[12:13], v[28:29]
	s_wait_alu 0xfffe
	v_fma_f64 v[16:17], v[18:19], s[4:5], v[16:17]
	v_add3_u32 v18, 0, v44, v77
	ds_store_2addr_b64 v18, v[12:13], v[14:15] offset0:81 offset1:84
	ds_store_b64 v18, v[16:17] offset:696
.LBB0_26:
	s_wait_alu 0xfffe
	s_or_b32 exec_lo, exec_lo, s1
	global_wb scope:SCOPE_SE
	s_wait_dscnt 0x0
	s_barrier_signal -1
	s_barrier_wait -1
	global_inv scope:SCOPE_SE
	s_and_saveexec_b32 s0, vcc_lo
	s_cbranch_execz .LBB0_28
; %bb.27:
	v_mul_u32_u24_e32 v12, 9, v70
	v_add_nc_u32_e32 v109, 0x51, v72
	v_add_nc_u32_e32 v101, 9, v72
	;; [unrolled: 1-line block ×3, first 2 shown]
	v_mul_lo_u32 v99, s3, v64
	v_lshlrev_b32_e32 v24, 4, v12
	v_mul_lo_u32 v100, s2, v65
	v_mad_co_u64_u32 v[95:96], null, s16, v101, 0
	v_mad_co_u64_u32 v[64:65], null, s2, v64, 0
	s_clause 0x8
	global_load_b128 v[44:47], v24, s[8:9] offset:224
	global_load_b128 v[40:43], v24, s[8:9] offset:96
	;; [unrolled: 1-line block ×9, first 2 shown]
	ds_load_b64 v[68:69], v76 offset:648
	ds_load_b64 v[77:78], v75
	ds_load_2addr_b64 v[48:51], v76 offset0:27 offset1:36
	ds_load_2addr_b64 v[52:55], v76 offset0:45 offset1:54
	ds_load_b64 v[70:71], v74
	ds_load_b64 v[83:84], v73
	ds_load_2addr_b64 v[73:76], v76 offset0:63 offset1:72
	v_mad_co_u64_u32 v[97:98], null, s16, v105, 0
	v_add3_u32 v65, v65, v100, v99
	s_mov_b32 s0, 0x134454ff
	s_mov_b32 s1, 0x3fee6f0e
	s_mov_b32 s3, 0xbfee6f0e
	s_wait_alu 0xfffe
	s_mov_b32 s2, s0
	v_lshlrev_b64_e32 v[64:65], 4, v[64:65]
	s_mov_b32 s4, 0x4755a5e
	s_mov_b32 s5, 0x3fe2cf23
	s_mov_b32 s8, 0x372fe950
	s_mov_b32 s9, 0x3fd3c6ef
	s_mov_b32 s10, 0x9b97f4a8
	s_mov_b32 s11, 0x3fe9e377
	s_wait_loadcnt 0x8
	v_mul_f64_e32 v[79:80], v[66:67], v[46:47]
	s_wait_dscnt 0x6
	v_mul_f64_e32 v[46:47], v[68:69], v[46:47]
	s_wait_loadcnt 0x7
	v_mul_f64_e32 v[81:82], v[60:61], v[42:43]
	s_wait_loadcnt 0x5
	v_mul_f64_e32 v[87:88], v[8:9], v[34:35]
	s_wait_dscnt 0x3
	v_mul_f64_e32 v[34:35], v[52:53], v[34:35]
	v_mul_f64_e32 v[42:43], v[77:78], v[42:43]
	s_wait_loadcnt 0x4
	v_mul_f64_e32 v[89:90], v[0:1], v[30:31]
	s_wait_dscnt 0x0
	v_mul_f64_e32 v[30:31], v[73:74], v[30:31]
	s_wait_loadcnt 0x2
	v_mul_f64_e32 v[93:94], v[6:7], v[22:23]
	v_mul_f64_e32 v[85:86], v[4:5], v[38:39]
	;; [unrolled: 1-line block ×6, first 2 shown]
	v_fma_f64 v[68:69], v[44:45], v[68:69], v[79:80]
	v_fma_f64 v[44:45], v[66:67], v[44:45], -v[46:47]
	s_wait_loadcnt 0x0
	v_mul_f64_e32 v[46:47], v[10:11], v[26:27]
	v_mul_f64_e32 v[79:80], v[2:3], v[14:15]
	v_fma_f64 v[8:9], v[8:9], v[32:33], -v[34:35]
	v_mad_co_u64_u32 v[34:35], null, s16, v109, 0
	v_add_nc_u32_e32 v104, 36, v72
	v_fma_f64 v[77:78], v[40:41], v[77:78], v[81:82]
	v_fma_f64 v[40:41], v[60:61], v[40:41], -v[42:43]
	v_mul_f64_e32 v[26:27], v[54:55], v[26:27]
	v_fma_f64 v[0:1], v[0:1], v[28:29], -v[30:31]
	v_mad_co_u64_u32 v[60:61], null, s16, v104, 0
	v_add_nc_u32_e32 v103, 27, v72
	v_fma_f64 v[30:31], v[50:51], v[20:21], v[93:94]
	v_fma_f64 v[48:49], v[36:37], v[48:49], v[85:86]
	v_fma_f64 v[4:5], v[4:5], v[36:37], -v[38:39]
	v_fma_f64 v[52:53], v[32:33], v[52:53], v[87:88]
	v_fma_f64 v[73:74], v[28:29], v[73:74], v[89:90]
	;; [unrolled: 1-line block ×3, first 2 shown]
	v_mul_f64_e32 v[14:15], v[75:76], v[14:15]
	v_mad_co_u64_u32 v[66:67], null, s16, v72, 0
	v_mov_b32_e32 v28, v96
	v_fma_f64 v[6:7], v[6:7], v[20:21], -v[22:23]
	v_fma_f64 v[16:17], v[58:59], v[16:17], -v[18:19]
	s_delay_alu instid0(VALU_DEP_4)
	v_mad_co_u64_u32 v[70:71], null, s17, v72, v[67:68]
	v_fma_f64 v[46:47], v[54:55], v[24:25], v[46:47]
	v_mov_b32_e32 v54, v61
	v_mad_co_u64_u32 v[42:43], null, s16, v103, 0
	v_fma_f64 v[79:80], v[75:76], v[12:13], v[79:80]
	v_dual_mov_b32 v67, v70 :: v_dual_add_nc_u32 v106, 54, v72
	v_lshlrev_b64_e32 v[61:62], 4, v[62:63]
	v_fma_f64 v[10:11], v[10:11], v[24:25], -v[26:27]
	v_add_f64_e64 v[26:27], v[44:45], -v[0:1]
	v_mad_co_u64_u32 v[85:86], null, s17, v103, v[43:44]
	v_add_nc_u32_e32 v108, 0x48, v72
	v_mad_co_u64_u32 v[36:37], null, s16, v106, 0
	v_add_f64_e64 v[24:25], v[4:5], -v[8:9]
	v_add_f64_e32 v[18:19], v[48:49], v[68:69]
	v_add_f64_e32 v[58:59], v[52:53], v[73:74]
	v_mov_b32_e32 v43, v85
	v_mad_co_u64_u32 v[32:33], null, s16, v108, 0
	v_add_nc_u32_e32 v107, 63, v72
	v_add_f64_e64 v[20:21], v[50:51], -v[30:31]
	v_add_f64_e64 v[92:93], v[30:31], -v[50:51]
	v_fma_f64 v[2:3], v[2:3], v[12:13], -v[14:15]
	v_add_f64_e32 v[12:13], v[4:5], v[44:45]
	v_mad_co_u64_u32 v[38:39], null, s16, v107, 0
	v_add_nc_u32_e32 v102, 18, v72
	v_add_f64_e32 v[14:15], v[8:9], v[0:1]
	v_lshlrev_b64_e32 v[42:43], 4, v[42:43]
	s_delay_alu instid0(VALU_DEP_3) | instskip(NEXT) | instid1(VALU_DEP_1)
	v_mad_co_u64_u32 v[81:82], null, s16, v102, 0
	v_mov_b32_e32 v29, v82
	v_add_f64_e64 v[22:23], v[79:80], -v[46:47]
	s_delay_alu instid0(VALU_DEP_2)
	v_mad_co_u64_u32 v[71:72], null, s17, v101, v[28:29]
	v_mov_b32_e32 v28, v98
	v_mad_co_u64_u32 v[75:76], null, s17, v102, v[29:30]
	v_mov_b32_e32 v29, v39
	v_add_f64_e64 v[98:99], v[46:47], -v[79:80]
	v_add_f64_e64 v[100:101], v[8:9], -v[4:5]
	;; [unrolled: 1-line block ×3, first 2 shown]
	v_add_f64_e32 v[24:25], v[24:25], v[26:27]
	v_mad_co_u64_u32 v[86:87], null, s17, v105, v[28:29]
	v_mad_co_u64_u32 v[87:88], null, s17, v106, v[37:38]
	v_mov_b32_e32 v28, v33
	v_mad_co_u64_u32 v[88:89], null, s17, v107, v[29:30]
	v_mov_b32_e32 v29, v35
	v_add_co_u32 v33, vcc_lo, s6, v64
	v_mad_co_u64_u32 v[54:55], null, s17, v104, v[54:55]
	s_delay_alu instid0(VALU_DEP_3)
	v_mad_co_u64_u32 v[89:90], null, s17, v108, v[28:29]
	s_wait_alu 0xfffd
	v_add_co_ci_u32_e32 v35, vcc_lo, s7, v65, vcc_lo
	v_add_f64_e64 v[64:65], v[48:49], -v[52:53]
	v_add_f64_e64 v[90:91], v[68:69], -v[73:74]
	;; [unrolled: 1-line block ×5, first 2 shown]
	v_fma_f64 v[18:19], v[18:19], -0.5, v[77:78]
	v_fma_f64 v[58:59], v[58:59], -0.5, v[77:78]
	v_add_f64_e32 v[76:77], v[48:49], v[77:78]
	v_add_f64_e32 v[20:21], v[20:21], v[22:23]
	v_add_f64_e64 v[22:23], v[52:53], -v[73:74]
	v_fma_f64 v[12:13], v[12:13], -0.5, v[40:41]
	v_fma_f64 v[14:15], v[14:15], -0.5, v[40:41]
	v_add_f64_e32 v[39:40], v[4:5], v[40:41]
	v_add_f64_e64 v[4:5], v[4:5], -v[44:45]
	v_add_f64_e64 v[48:49], v[48:49], -v[68:69]
	s_mov_b32 s7, 0xbfe2cf23
	s_wait_alu 0xfffe
	s_mov_b32 s6, s4
	v_mov_b32_e32 v96, v71
	v_add_f64_e32 v[92:93], v[92:93], v[98:99]
	v_add_f64_e64 v[98:99], v[2:3], -v[10:11]
	v_add_f64_e32 v[100:101], v[100:101], v[102:103]
	v_add_f64_e64 v[102:103], v[6:7], -v[16:17]
	v_mad_co_u64_u32 v[28:29], null, s17, v109, v[29:30]
	v_add_co_u32 v94, vcc_lo, v33, v61
	v_mov_b32_e32 v33, v89
	v_mov_b32_e32 v61, v54
	;; [unrolled: 1-line block ×3, first 2 shown]
	s_delay_alu instid0(VALU_DEP_2)
	v_lshlrev_b64_e32 v[60:61], 4, v[60:61]
	v_add_f64_e32 v[64:65], v[64:65], v[90:91]
	v_add_f64_e64 v[90:91], v[16:17], -v[6:7]
	v_add_f64_e32 v[104:105], v[104:105], v[106:107]
	v_add_f64_e64 v[106:107], v[10:11], -v[2:3]
	v_add_f64_e32 v[52:53], v[52:53], v[76:77]
	v_fma_f64 v[76:77], v[26:27], s[2:3], v[18:19]
	v_fma_f64 v[18:19], v[26:27], s[0:1], v[18:19]
	v_add_f64_e32 v[8:9], v[8:9], v[39:40]
	v_fma_f64 v[39:40], v[48:49], s[2:3], v[14:15]
	v_fma_f64 v[14:15], v[48:49], s[0:1], v[14:15]
	;; [unrolled: 3-line block ×4, first 2 shown]
	v_fma_f64 v[76:77], v[4:5], s[4:5], v[76:77]
	s_wait_alu 0xfffe
	v_fma_f64 v[4:5], v[4:5], s[6:7], v[18:19]
	v_add_f64_e32 v[18:19], v[6:7], v[10:11]
	v_add_f64_e32 v[52:53], v[73:74], v[52:53]
	;; [unrolled: 1-line block ×3, first 2 shown]
	v_fma_f64 v[39:40], v[22:23], s[6:7], v[39:40]
	v_fma_f64 v[14:15], v[22:23], s[4:5], v[14:15]
	v_add_f64_e32 v[22:23], v[50:51], v[79:80]
	v_fma_f64 v[98:99], v[48:49], s[6:7], v[98:99]
	v_fma_f64 v[12:13], v[48:49], s[4:5], v[12:13]
	v_add_f64_e32 v[48:49], v[16:17], v[2:3]
	;; [unrolled: 3-line block ×3, first 2 shown]
	v_fma_f64 v[76:77], v[104:105], s[8:9], v[76:77]
	v_fma_f64 v[18:19], v[18:19], -0.5, v[56:57]
	v_fma_f64 v[4:5], v[104:105], s[8:9], v[4:5]
	v_add_f64_e32 v[52:53], v[68:69], v[52:53]
	v_add_f64_e32 v[44:45], v[44:45], v[0:1]
	v_fma_f64 v[40:41], v[24:25], s[8:9], v[39:40]
	v_fma_f64 v[14:15], v[24:25], s[8:9], v[14:15]
	v_fma_f64 v[22:23], v[22:23], -0.5, v[83:84]
	v_lshlrev_b64_e32 v[0:1], 4, v[95:96]
	v_mov_b32_e32 v39, v88
	v_fma_f64 v[108:109], v[100:101], s[8:9], v[98:99]
	v_fma_f64 v[12:13], v[100:101], s[8:9], v[12:13]
	v_fma_f64 v[48:49], v[48:49], -0.5, v[56:57]
	v_add_f64_e32 v[55:56], v[56:57], v[16:17]
	v_add_f64_e64 v[16:17], v[16:17], -v[2:3]
	v_fma_f64 v[57:58], v[58:59], -0.5, v[83:84]
	v_add_f64_e32 v[82:83], v[50:51], v[83:84]
	v_add_f64_e64 v[50:51], v[50:51], -v[79:80]
	v_fma_f64 v[100:101], v[64:65], s[8:9], v[106:107]
	v_fma_f64 v[26:27], v[64:65], s[8:9], v[26:27]
	v_mul_f64_e32 v[106:107], s[10:11], v[40:41]
	v_mul_f64_e32 v[72:73], s[2:3], v[12:13]
	v_add_f64_e32 v[55:56], v[55:56], v[6:7]
	v_add_f64_e64 v[6:7], v[6:7], -v[10:11]
	v_fma_f64 v[104:105], v[16:17], s[0:1], v[57:58]
	v_add_f64_e32 v[82:83], v[30:31], v[82:83]
	v_add_f64_e64 v[29:30], v[30:31], -v[46:47]
	v_fma_f64 v[57:58], v[16:17], s[2:3], v[57:58]
	v_fma_f64 v[64:65], v[50:51], s[2:3], v[18:19]
	;; [unrolled: 1-line block ×3, first 2 shown]
	v_add_f64_e32 v[10:11], v[55:56], v[10:11]
	v_fma_f64 v[98:99], v[6:7], s[2:3], v[22:23]
	v_fma_f64 v[22:23], v[6:7], s[0:1], v[22:23]
	v_add_f64_e32 v[46:47], v[46:47], v[82:83]
	v_fma_f64 v[24:25], v[29:30], s[0:1], v[48:49]
	v_fma_f64 v[48:49], v[29:30], s[2:3], v[48:49]
	;; [unrolled: 1-line block ×4, first 2 shown]
	v_mul_f64_e32 v[57:58], s[10:11], v[100:101]
	v_fma_f64 v[18:19], v[29:30], s[4:5], v[18:19]
	v_mul_f64_e32 v[83:84], s[0:1], v[4:5]
	v_mul_f64_e32 v[104:105], s[8:9], v[108:109]
	v_mov_b32_e32 v82, v75
	v_fma_f64 v[74:75], v[100:101], s[4:5], -v[106:107]
	v_add_f64_e32 v[10:11], v[2:3], v[10:11]
	v_fma_f64 v[55:56], v[16:17], s[4:5], v[98:99]
	v_fma_f64 v[16:17], v[16:17], s[6:7], v[22:23]
	;; [unrolled: 1-line block ×3, first 2 shown]
	v_mul_f64_e32 v[64:65], s[8:9], v[76:77]
	v_fma_f64 v[24:25], v[50:51], s[6:7], v[24:25]
	v_fma_f64 v[48:49], v[50:51], s[4:5], v[48:49]
	v_mul_f64_e32 v[29:30], s[6:7], v[14:15]
	v_mul_f64_e32 v[50:51], s[4:5], v[26:27]
	v_add_f64_e32 v[46:47], v[79:80], v[46:47]
	s_wait_alu 0xfffd
	v_add_co_ci_u32_e32 v99, vcc_lo, v35, v62, vcc_lo
	v_lshlrev_b64_e32 v[62:63], 4, v[66:67]
	v_fma_f64 v[8:9], v[20:21], s[8:9], v[8:9]
	v_fma_f64 v[66:67], v[20:21], s[8:9], v[6:7]
	v_fma_f64 v[20:21], v[40:41], s[6:7], -v[57:58]
	v_fma_f64 v[12:13], v[12:13], s[8:9], v[83:84]
	v_mov_b32_e32 v35, v28
	v_lshlrev_b64_e32 v[2:3], 4, v[81:82]
	v_add_co_u32 v62, vcc_lo, v94, v62
	s_wait_alu 0xfffd
	v_add_co_ci_u32_e32 v63, vcc_lo, v99, v63, vcc_lo
	v_mov_b32_e32 v98, v86
	v_add_co_u32 v86, vcc_lo, v94, v0
	v_lshlrev_b64_e32 v[82:83], 4, v[32:33]
	v_lshlrev_b64_e32 v[84:85], 4, v[34:35]
	s_wait_alu 0xfffd
	v_add_co_ci_u32_e32 v87, vcc_lo, v99, v1, vcc_lo
	v_add_co_u32 v88, vcc_lo, v94, v2
	s_wait_alu 0xfffd
	v_add_co_ci_u32_e32 v89, vcc_lo, v99, v3, vcc_lo
	v_lshlrev_b64_e32 v[78:79], 4, v[36:37]
	v_lshlrev_b64_e32 v[80:81], 4, v[38:39]
	v_add_f64_e64 v[0:1], v[10:11], -v[44:45]
	v_fma_f64 v[54:55], v[92:93], s[8:9], v[55:56]
	v_fma_f64 v[16:17], v[92:93], s[8:9], v[16:17]
	;; [unrolled: 1-line block ×3, first 2 shown]
	v_fma_f64 v[40:41], v[108:109], s[2:3], -v[64:65]
	v_fma_f64 v[64:65], v[90:91], s[8:9], v[18:19]
	v_fma_f64 v[48:49], v[102:103], s[8:9], v[48:49]
	;; [unrolled: 1-line block ×5, first 2 shown]
	v_fma_f64 v[72:73], v[76:77], s[0:1], -v[104:105]
	v_fma_f64 v[68:69], v[90:91], s[8:9], v[22:23]
	v_add_f64_e32 v[6:7], v[46:47], v[52:53]
	v_add_f64_e32 v[4:5], v[10:11], v[44:45]
	v_add_f64_e64 v[2:3], v[46:47], -v[52:53]
	v_add_f64_e64 v[10:11], v[8:9], -v[20:21]
	v_add_f64_e32 v[22:23], v[8:9], v[20:21]
	v_lshlrev_b64_e32 v[76:77], 4, v[97:98]
	v_add_f64_e32 v[30:31], v[16:17], v[56:57]
	v_add_f64_e32 v[26:27], v[54:55], v[40:41]
	v_add_f64_e64 v[18:19], v[16:17], -v[56:57]
	v_add_f64_e32 v[28:29], v[48:49], v[12:13]
	v_add_f64_e32 v[34:35], v[66:67], v[70:71]
	;; [unrolled: 1-line block ×3, first 2 shown]
	v_add_f64_e64 v[38:39], v[66:67], -v[70:71]
	v_add_f64_e32 v[24:25], v[58:59], v[72:73]
	v_add_f64_e32 v[20:21], v[68:69], v[74:75]
	v_add_f64_e64 v[36:37], v[64:65], -v[50:51]
	v_add_f64_e64 v[16:17], v[48:49], -v[12:13]
	;; [unrolled: 1-line block ×5, first 2 shown]
	v_add_co_u32 v40, vcc_lo, v94, v42
	s_wait_alu 0xfffd
	v_add_co_ci_u32_e32 v41, vcc_lo, v99, v43, vcc_lo
	v_add_co_u32 v42, vcc_lo, v94, v60
	s_wait_alu 0xfffd
	v_add_co_ci_u32_e32 v43, vcc_lo, v99, v61, vcc_lo
	;; [unrolled: 3-line block ×7, first 2 shown]
	s_clause 0x9
	global_store_b128 v[62:63], v[4:7], off
	global_store_b128 v[86:87], v[32:35], off
	;; [unrolled: 1-line block ×10, first 2 shown]
.LBB0_28:
	s_nop 0
	s_sendmsg sendmsg(MSG_DEALLOC_VGPRS)
	s_endpgm
	.section	.rodata,"a",@progbits
	.p2align	6, 0x0
	.amdhsa_kernel fft_rtc_fwd_len90_factors_3_3_10_wgs_63_tpt_9_halfLds_dp_op_CI_CI_sbrr_dirReg
		.amdhsa_group_segment_fixed_size 0
		.amdhsa_private_segment_fixed_size 0
		.amdhsa_kernarg_size 104
		.amdhsa_user_sgpr_count 2
		.amdhsa_user_sgpr_dispatch_ptr 0
		.amdhsa_user_sgpr_queue_ptr 0
		.amdhsa_user_sgpr_kernarg_segment_ptr 1
		.amdhsa_user_sgpr_dispatch_id 0
		.amdhsa_user_sgpr_private_segment_size 0
		.amdhsa_wavefront_size32 1
		.amdhsa_uses_dynamic_stack 0
		.amdhsa_enable_private_segment 0
		.amdhsa_system_sgpr_workgroup_id_x 1
		.amdhsa_system_sgpr_workgroup_id_y 0
		.amdhsa_system_sgpr_workgroup_id_z 0
		.amdhsa_system_sgpr_workgroup_info 0
		.amdhsa_system_vgpr_workitem_id 0
		.amdhsa_next_free_vgpr 114
		.amdhsa_next_free_sgpr 43
		.amdhsa_reserve_vcc 1
		.amdhsa_float_round_mode_32 0
		.amdhsa_float_round_mode_16_64 0
		.amdhsa_float_denorm_mode_32 3
		.amdhsa_float_denorm_mode_16_64 3
		.amdhsa_fp16_overflow 0
		.amdhsa_workgroup_processor_mode 1
		.amdhsa_memory_ordered 1
		.amdhsa_forward_progress 0
		.amdhsa_round_robin_scheduling 0
		.amdhsa_exception_fp_ieee_invalid_op 0
		.amdhsa_exception_fp_denorm_src 0
		.amdhsa_exception_fp_ieee_div_zero 0
		.amdhsa_exception_fp_ieee_overflow 0
		.amdhsa_exception_fp_ieee_underflow 0
		.amdhsa_exception_fp_ieee_inexact 0
		.amdhsa_exception_int_div_zero 0
	.end_amdhsa_kernel
	.text
.Lfunc_end0:
	.size	fft_rtc_fwd_len90_factors_3_3_10_wgs_63_tpt_9_halfLds_dp_op_CI_CI_sbrr_dirReg, .Lfunc_end0-fft_rtc_fwd_len90_factors_3_3_10_wgs_63_tpt_9_halfLds_dp_op_CI_CI_sbrr_dirReg
                                        ; -- End function
	.section	.AMDGPU.csdata,"",@progbits
; Kernel info:
; codeLenInByte = 7128
; NumSgprs: 45
; NumVgprs: 114
; ScratchSize: 0
; MemoryBound: 1
; FloatMode: 240
; IeeeMode: 1
; LDSByteSize: 0 bytes/workgroup (compile time only)
; SGPRBlocks: 5
; VGPRBlocks: 14
; NumSGPRsForWavesPerEU: 45
; NumVGPRsForWavesPerEU: 114
; Occupancy: 12
; WaveLimiterHint : 1
; COMPUTE_PGM_RSRC2:SCRATCH_EN: 0
; COMPUTE_PGM_RSRC2:USER_SGPR: 2
; COMPUTE_PGM_RSRC2:TRAP_HANDLER: 0
; COMPUTE_PGM_RSRC2:TGID_X_EN: 1
; COMPUTE_PGM_RSRC2:TGID_Y_EN: 0
; COMPUTE_PGM_RSRC2:TGID_Z_EN: 0
; COMPUTE_PGM_RSRC2:TIDIG_COMP_CNT: 0
	.text
	.p2alignl 7, 3214868480
	.fill 96, 4, 3214868480
	.type	__hip_cuid_258d849ed5c1c8bc,@object ; @__hip_cuid_258d849ed5c1c8bc
	.section	.bss,"aw",@nobits
	.globl	__hip_cuid_258d849ed5c1c8bc
__hip_cuid_258d849ed5c1c8bc:
	.byte	0                               ; 0x0
	.size	__hip_cuid_258d849ed5c1c8bc, 1

	.ident	"AMD clang version 19.0.0git (https://github.com/RadeonOpenCompute/llvm-project roc-6.4.0 25133 c7fe45cf4b819c5991fe208aaa96edf142730f1d)"
	.section	".note.GNU-stack","",@progbits
	.addrsig
	.addrsig_sym __hip_cuid_258d849ed5c1c8bc
	.amdgpu_metadata
---
amdhsa.kernels:
  - .args:
      - .actual_access:  read_only
        .address_space:  global
        .offset:         0
        .size:           8
        .value_kind:     global_buffer
      - .offset:         8
        .size:           8
        .value_kind:     by_value
      - .actual_access:  read_only
        .address_space:  global
        .offset:         16
        .size:           8
        .value_kind:     global_buffer
      - .actual_access:  read_only
        .address_space:  global
        .offset:         24
        .size:           8
        .value_kind:     global_buffer
      - .actual_access:  read_only
        .address_space:  global
        .offset:         32
        .size:           8
        .value_kind:     global_buffer
      - .offset:         40
        .size:           8
        .value_kind:     by_value
      - .actual_access:  read_only
        .address_space:  global
        .offset:         48
        .size:           8
        .value_kind:     global_buffer
      - .actual_access:  read_only
        .address_space:  global
        .offset:         56
        .size:           8
        .value_kind:     global_buffer
      - .offset:         64
        .size:           4
        .value_kind:     by_value
      - .actual_access:  read_only
        .address_space:  global
        .offset:         72
        .size:           8
        .value_kind:     global_buffer
      - .actual_access:  read_only
        .address_space:  global
        .offset:         80
        .size:           8
        .value_kind:     global_buffer
      - .actual_access:  read_only
        .address_space:  global
        .offset:         88
        .size:           8
        .value_kind:     global_buffer
      - .actual_access:  write_only
        .address_space:  global
        .offset:         96
        .size:           8
        .value_kind:     global_buffer
    .group_segment_fixed_size: 0
    .kernarg_segment_align: 8
    .kernarg_segment_size: 104
    .language:       OpenCL C
    .language_version:
      - 2
      - 0
    .max_flat_workgroup_size: 63
    .name:           fft_rtc_fwd_len90_factors_3_3_10_wgs_63_tpt_9_halfLds_dp_op_CI_CI_sbrr_dirReg
    .private_segment_fixed_size: 0
    .sgpr_count:     45
    .sgpr_spill_count: 0
    .symbol:         fft_rtc_fwd_len90_factors_3_3_10_wgs_63_tpt_9_halfLds_dp_op_CI_CI_sbrr_dirReg.kd
    .uniform_work_group_size: 1
    .uses_dynamic_stack: false
    .vgpr_count:     114
    .vgpr_spill_count: 0
    .wavefront_size: 32
    .workgroup_processor_mode: 1
amdhsa.target:   amdgcn-amd-amdhsa--gfx1201
amdhsa.version:
  - 1
  - 2
...

	.end_amdgpu_metadata
